;; amdgpu-corpus repo=ROCm/rocFFT kind=compiled arch=gfx1030 opt=O3
	.text
	.amdgcn_target "amdgcn-amd-amdhsa--gfx1030"
	.amdhsa_code_object_version 6
	.protected	fft_rtc_back_len616_factors_11_7_8_wgs_88_tpt_88_dp_op_CI_CI_unitstride_sbrr_dirReg ; -- Begin function fft_rtc_back_len616_factors_11_7_8_wgs_88_tpt_88_dp_op_CI_CI_unitstride_sbrr_dirReg
	.globl	fft_rtc_back_len616_factors_11_7_8_wgs_88_tpt_88_dp_op_CI_CI_unitstride_sbrr_dirReg
	.p2align	8
	.type	fft_rtc_back_len616_factors_11_7_8_wgs_88_tpt_88_dp_op_CI_CI_unitstride_sbrr_dirReg,@function
fft_rtc_back_len616_factors_11_7_8_wgs_88_tpt_88_dp_op_CI_CI_unitstride_sbrr_dirReg: ; @fft_rtc_back_len616_factors_11_7_8_wgs_88_tpt_88_dp_op_CI_CI_unitstride_sbrr_dirReg
; %bb.0:
	s_clause 0x2
	s_load_dwordx4 s[12:15], s[4:5], 0x0
	s_load_dwordx4 s[8:11], s[4:5], 0x58
	;; [unrolled: 1-line block ×3, first 2 shown]
	v_mul_u32_u24_e32 v1, 0x2e9, v0
	v_mov_b32_e32 v3, 0
	v_add_nc_u32_sdwa v5, s6, v1 dst_sel:DWORD dst_unused:UNUSED_PAD src0_sel:DWORD src1_sel:WORD_1
	v_mov_b32_e32 v1, 0
	v_mov_b32_e32 v6, v3
	v_mov_b32_e32 v2, 0
	s_waitcnt lgkmcnt(0)
	v_cmp_lt_u64_e64 s0, s[14:15], 2
	s_and_b32 vcc_lo, exec_lo, s0
	s_cbranch_vccnz .LBB0_8
; %bb.1:
	s_load_dwordx2 s[0:1], s[4:5], 0x10
	v_mov_b32_e32 v1, 0
	v_mov_b32_e32 v2, 0
	s_add_u32 s2, s18, 8
	s_addc_u32 s3, s19, 0
	s_add_u32 s6, s16, 8
	s_addc_u32 s7, s17, 0
	v_mov_b32_e32 v49, v2
	v_mov_b32_e32 v48, v1
	s_mov_b64 s[22:23], 1
	s_waitcnt lgkmcnt(0)
	s_add_u32 s20, s0, 8
	s_addc_u32 s21, s1, 0
.LBB0_2:                                ; =>This Inner Loop Header: Depth=1
	s_load_dwordx2 s[24:25], s[20:21], 0x0
                                        ; implicit-def: $vgpr50_vgpr51
	s_mov_b32 s0, exec_lo
	s_waitcnt lgkmcnt(0)
	v_or_b32_e32 v4, s25, v6
	v_cmpx_ne_u64_e32 0, v[3:4]
	s_xor_b32 s1, exec_lo, s0
	s_cbranch_execz .LBB0_4
; %bb.3:                                ;   in Loop: Header=BB0_2 Depth=1
	v_cvt_f32_u32_e32 v4, s24
	v_cvt_f32_u32_e32 v7, s25
	s_sub_u32 s0, 0, s24
	s_subb_u32 s26, 0, s25
	v_fmac_f32_e32 v4, 0x4f800000, v7
	v_rcp_f32_e32 v4, v4
	v_mul_f32_e32 v4, 0x5f7ffffc, v4
	v_mul_f32_e32 v7, 0x2f800000, v4
	v_trunc_f32_e32 v7, v7
	v_fmac_f32_e32 v4, 0xcf800000, v7
	v_cvt_u32_f32_e32 v7, v7
	v_cvt_u32_f32_e32 v4, v4
	v_mul_lo_u32 v8, s0, v7
	v_mul_hi_u32 v9, s0, v4
	v_mul_lo_u32 v10, s26, v4
	v_add_nc_u32_e32 v8, v9, v8
	v_mul_lo_u32 v9, s0, v4
	v_add_nc_u32_e32 v8, v8, v10
	v_mul_hi_u32 v10, v4, v9
	v_mul_lo_u32 v11, v4, v8
	v_mul_hi_u32 v12, v4, v8
	v_mul_hi_u32 v13, v7, v9
	v_mul_lo_u32 v9, v7, v9
	v_mul_hi_u32 v14, v7, v8
	v_mul_lo_u32 v8, v7, v8
	v_add_co_u32 v10, vcc_lo, v10, v11
	v_add_co_ci_u32_e32 v11, vcc_lo, 0, v12, vcc_lo
	v_add_co_u32 v9, vcc_lo, v10, v9
	v_add_co_ci_u32_e32 v9, vcc_lo, v11, v13, vcc_lo
	v_add_co_ci_u32_e32 v10, vcc_lo, 0, v14, vcc_lo
	v_add_co_u32 v8, vcc_lo, v9, v8
	v_add_co_ci_u32_e32 v9, vcc_lo, 0, v10, vcc_lo
	v_add_co_u32 v4, vcc_lo, v4, v8
	v_add_co_ci_u32_e32 v7, vcc_lo, v7, v9, vcc_lo
	v_mul_hi_u32 v8, s0, v4
	v_mul_lo_u32 v10, s26, v4
	v_mul_lo_u32 v9, s0, v7
	v_add_nc_u32_e32 v8, v8, v9
	v_mul_lo_u32 v9, s0, v4
	v_add_nc_u32_e32 v8, v8, v10
	v_mul_hi_u32 v10, v4, v9
	v_mul_lo_u32 v11, v4, v8
	v_mul_hi_u32 v12, v4, v8
	v_mul_hi_u32 v13, v7, v9
	v_mul_lo_u32 v9, v7, v9
	v_mul_hi_u32 v14, v7, v8
	v_mul_lo_u32 v8, v7, v8
	v_add_co_u32 v10, vcc_lo, v10, v11
	v_add_co_ci_u32_e32 v11, vcc_lo, 0, v12, vcc_lo
	v_add_co_u32 v9, vcc_lo, v10, v9
	v_add_co_ci_u32_e32 v9, vcc_lo, v11, v13, vcc_lo
	v_add_co_ci_u32_e32 v10, vcc_lo, 0, v14, vcc_lo
	v_add_co_u32 v8, vcc_lo, v9, v8
	v_add_co_ci_u32_e32 v9, vcc_lo, 0, v10, vcc_lo
	v_add_co_u32 v4, vcc_lo, v4, v8
	v_add_co_ci_u32_e32 v11, vcc_lo, v7, v9, vcc_lo
	v_mul_hi_u32 v13, v5, v4
	v_mad_u64_u32 v[9:10], null, v6, v4, 0
	v_mad_u64_u32 v[7:8], null, v5, v11, 0
	;; [unrolled: 1-line block ×3, first 2 shown]
	v_add_co_u32 v4, vcc_lo, v13, v7
	v_add_co_ci_u32_e32 v7, vcc_lo, 0, v8, vcc_lo
	v_add_co_u32 v4, vcc_lo, v4, v9
	v_add_co_ci_u32_e32 v4, vcc_lo, v7, v10, vcc_lo
	v_add_co_ci_u32_e32 v7, vcc_lo, 0, v12, vcc_lo
	v_add_co_u32 v4, vcc_lo, v4, v11
	v_add_co_ci_u32_e32 v9, vcc_lo, 0, v7, vcc_lo
	v_mul_lo_u32 v10, s25, v4
	v_mad_u64_u32 v[7:8], null, s24, v4, 0
	v_mul_lo_u32 v11, s24, v9
	v_sub_co_u32 v7, vcc_lo, v5, v7
	v_add3_u32 v8, v8, v11, v10
	v_sub_nc_u32_e32 v10, v6, v8
	v_subrev_co_ci_u32_e64 v10, s0, s25, v10, vcc_lo
	v_add_co_u32 v11, s0, v4, 2
	v_add_co_ci_u32_e64 v12, s0, 0, v9, s0
	v_sub_co_u32 v13, s0, v7, s24
	v_sub_co_ci_u32_e32 v8, vcc_lo, v6, v8, vcc_lo
	v_subrev_co_ci_u32_e64 v10, s0, 0, v10, s0
	v_cmp_le_u32_e32 vcc_lo, s24, v13
	v_cmp_eq_u32_e64 s0, s25, v8
	v_cndmask_b32_e64 v13, 0, -1, vcc_lo
	v_cmp_le_u32_e32 vcc_lo, s25, v10
	v_cndmask_b32_e64 v14, 0, -1, vcc_lo
	v_cmp_le_u32_e32 vcc_lo, s24, v7
	;; [unrolled: 2-line block ×3, first 2 shown]
	v_cndmask_b32_e64 v15, 0, -1, vcc_lo
	v_cmp_eq_u32_e32 vcc_lo, s25, v10
	v_cndmask_b32_e64 v7, v15, v7, s0
	v_cndmask_b32_e32 v10, v14, v13, vcc_lo
	v_add_co_u32 v13, vcc_lo, v4, 1
	v_add_co_ci_u32_e32 v14, vcc_lo, 0, v9, vcc_lo
	v_cmp_ne_u32_e32 vcc_lo, 0, v10
	v_cndmask_b32_e32 v8, v14, v12, vcc_lo
	v_cndmask_b32_e32 v10, v13, v11, vcc_lo
	v_cmp_ne_u32_e32 vcc_lo, 0, v7
	v_cndmask_b32_e32 v51, v9, v8, vcc_lo
	v_cndmask_b32_e32 v50, v4, v10, vcc_lo
.LBB0_4:                                ;   in Loop: Header=BB0_2 Depth=1
	s_andn2_saveexec_b32 s0, s1
	s_cbranch_execz .LBB0_6
; %bb.5:                                ;   in Loop: Header=BB0_2 Depth=1
	v_cvt_f32_u32_e32 v4, s24
	s_sub_i32 s1, 0, s24
	v_mov_b32_e32 v51, v3
	v_rcp_iflag_f32_e32 v4, v4
	v_mul_f32_e32 v4, 0x4f7ffffe, v4
	v_cvt_u32_f32_e32 v4, v4
	v_mul_lo_u32 v7, s1, v4
	v_mul_hi_u32 v7, v4, v7
	v_add_nc_u32_e32 v4, v4, v7
	v_mul_hi_u32 v4, v5, v4
	v_mul_lo_u32 v7, v4, s24
	v_add_nc_u32_e32 v8, 1, v4
	v_sub_nc_u32_e32 v7, v5, v7
	v_subrev_nc_u32_e32 v9, s24, v7
	v_cmp_le_u32_e32 vcc_lo, s24, v7
	v_cndmask_b32_e32 v7, v7, v9, vcc_lo
	v_cndmask_b32_e32 v4, v4, v8, vcc_lo
	v_cmp_le_u32_e32 vcc_lo, s24, v7
	v_add_nc_u32_e32 v8, 1, v4
	v_cndmask_b32_e32 v50, v4, v8, vcc_lo
.LBB0_6:                                ;   in Loop: Header=BB0_2 Depth=1
	s_or_b32 exec_lo, exec_lo, s0
	v_mul_lo_u32 v4, v51, s24
	v_mul_lo_u32 v9, v50, s25
	s_load_dwordx2 s[0:1], s[6:7], 0x0
	v_mad_u64_u32 v[7:8], null, v50, s24, 0
	s_load_dwordx2 s[24:25], s[2:3], 0x0
	s_add_u32 s22, s22, 1
	s_addc_u32 s23, s23, 0
	s_add_u32 s2, s2, 8
	s_addc_u32 s3, s3, 0
	s_add_u32 s6, s6, 8
	v_add3_u32 v4, v8, v9, v4
	v_sub_co_u32 v5, vcc_lo, v5, v7
	s_addc_u32 s7, s7, 0
	s_add_u32 s20, s20, 8
	v_sub_co_ci_u32_e32 v4, vcc_lo, v6, v4, vcc_lo
	s_addc_u32 s21, s21, 0
	s_waitcnt lgkmcnt(0)
	v_mul_lo_u32 v6, s0, v4
	v_mul_lo_u32 v7, s1, v5
	v_mad_u64_u32 v[1:2], null, s0, v5, v[1:2]
	v_mul_lo_u32 v4, s24, v4
	v_mul_lo_u32 v8, s25, v5
	v_mad_u64_u32 v[48:49], null, s24, v5, v[48:49]
	v_cmp_ge_u64_e64 s0, s[22:23], s[14:15]
	v_add3_u32 v2, v7, v2, v6
	v_add3_u32 v49, v8, v49, v4
	s_and_b32 vcc_lo, exec_lo, s0
	s_cbranch_vccnz .LBB0_9
; %bb.7:                                ;   in Loop: Header=BB0_2 Depth=1
	v_mov_b32_e32 v5, v50
	v_mov_b32_e32 v6, v51
	s_branch .LBB0_2
.LBB0_8:
	v_mov_b32_e32 v49, v2
	v_mov_b32_e32 v51, v6
	;; [unrolled: 1-line block ×4, first 2 shown]
.LBB0_9:
	s_load_dwordx2 s[0:1], s[4:5], 0x28
	v_mul_hi_u32 v3, 0x2e8ba2f, v0
	s_lshl_b64 s[4:5], s[14:15], 3
                                        ; implicit-def: $vgpr42_vgpr43
                                        ; implicit-def: $vgpr38_vgpr39
                                        ; implicit-def: $vgpr34_vgpr35
                                        ; implicit-def: $vgpr26_vgpr27
                                        ; implicit-def: $vgpr6_vgpr7
                                        ; implicit-def: $vgpr10_vgpr11
                                        ; implicit-def: $vgpr14_vgpr15
                                        ; implicit-def: $vgpr18_vgpr19
                                        ; implicit-def: $vgpr30_vgpr31
                                        ; implicit-def: $vgpr46_vgpr47
                                        ; implicit-def: $vgpr22_vgpr23
	s_add_u32 s2, s18, s4
	s_addc_u32 s3, s19, s5
	v_mul_u32_u24_e32 v3, 0x58, v3
	v_sub_nc_u32_e32 v52, v0, v3
	s_waitcnt lgkmcnt(0)
	v_cmp_gt_u64_e32 vcc_lo, s[0:1], v[50:51]
	v_cmp_gt_u32_e64 s0, 56, v52
	s_and_b32 s1, vcc_lo, s0
	s_and_saveexec_b32 s6, s1
	s_cbranch_execz .LBB0_11
; %bb.10:
	s_add_u32 s4, s16, s4
	s_addc_u32 s5, s17, s5
	v_mov_b32_e32 v53, 0
	s_load_dwordx2 s[4:5], s[4:5], 0x0
	s_waitcnt lgkmcnt(0)
	v_mul_lo_u32 v0, s5, v50
	v_mul_lo_u32 v5, s4, v51
	v_mad_u64_u32 v[3:4], null, s4, v50, 0
	v_add3_u32 v4, v4, v5, v0
	v_lshlrev_b64 v[0:1], 4, v[1:2]
	v_or_b32_e32 v2, 0x1c0, v52
	v_lshlrev_b64 v[5:6], 4, v[52:53]
	v_lshlrev_b64 v[3:4], 4, v[3:4]
	v_add_co_u32 v7, s1, s8, v3
	v_add_co_ci_u32_e64 v4, s1, s9, v4, s1
	v_mov_b32_e32 v3, v53
	v_add_co_u32 v7, s1, v7, v0
	v_add_co_ci_u32_e64 v4, s1, v4, v1, s1
	v_lshlrev_b64 v[0:1], 4, v[2:3]
	v_add_co_u32 v2, s1, v7, v5
	v_add_co_ci_u32_e64 v3, s1, v4, v6, s1
	s_clause 0x1
	global_load_dwordx4 v[20:23], v[2:3], off
	global_load_dwordx4 v[40:43], v[2:3], off offset:896
	v_add_co_u32 v0, s1, v7, v0
	v_add_co_ci_u32_e64 v1, s1, v4, v1, s1
	v_add_co_u32 v4, s1, 0x800, v2
	v_add_co_ci_u32_e64 v5, s1, 0, v3, s1
	;; [unrolled: 2-line block ×5, first 2 shown]
	s_clause 0x8
	global_load_dwordx4 v[44:47], v[2:3], off offset:1792
	global_load_dwordx4 v[36:39], v[4:5], off offset:640
	;; [unrolled: 1-line block ×6, first 2 shown]
	global_load_dwordx4 v[12:15], v[0:1], off
	global_load_dwordx4 v[8:11], v[8:9], off offset:1920
	global_load_dwordx4 v[4:7], v[53:54], off offset:768
.LBB0_11:
	s_or_b32 exec_lo, exec_lo, s6
	s_waitcnt vmcnt(0)
	v_add_f64 v[79:80], v[42:43], -v[6:7]
	v_add_f64 v[91:92], v[40:41], -v[4:5]
	s_mov_b32 s4, 0xbb3a28a1
	s_mov_b32 s5, 0xbfe82f19
	v_add_f64 v[89:90], v[40:41], v[4:5]
	v_add_f64 v[63:64], v[46:47], -v[10:11]
	v_add_f64 v[83:84], v[42:43], v[6:7]
	v_add_f64 v[87:88], v[44:45], -v[8:9]
	s_mov_b32 s6, 0x7f775887
	s_mov_b32 s16, 0x43842ef
	;; [unrolled: 1-line block ×4, first 2 shown]
	v_add_f64 v[85:86], v[8:9], v[44:45]
	v_add_f64 v[67:68], v[10:11], v[46:47]
	v_add_f64 v[57:58], v[38:39], -v[14:15]
	v_add_f64 v[81:82], v[36:37], -v[12:13]
	s_mov_b32 s14, 0x640f44db
	s_mov_b32 s8, 0xf8bb580b
	;; [unrolled: 1-line block ×4, first 2 shown]
	v_add_f64 v[77:78], v[36:37], v[12:13]
	v_add_f64 v[65:66], v[38:39], v[14:15]
	v_mul_f64 v[101:102], v[79:80], s[4:5]
	v_mul_f64 v[107:108], v[91:92], s[4:5]
	v_add_f64 v[53:54], v[34:35], -v[18:19]
	v_add_f64 v[71:72], v[32:33], -v[16:17]
	s_mov_b32 s18, 0x8764f0ba
	v_mul_f64 v[99:100], v[63:64], s[16:17]
	s_mov_b32 s20, 0xfd768dbf
	v_mul_f64 v[103:104], v[87:88], s[16:17]
	s_mov_b32 s19, 0x3feaeb8c
	s_mov_b32 s21, 0xbfd207e7
	v_add_f64 v[75:76], v[32:33], v[16:17]
	v_add_f64 v[59:60], v[34:35], v[18:19]
	v_add_f64 v[55:56], v[30:31], -v[26:27]
	v_add_f64 v[69:70], v[28:29], -v[24:25]
	v_mul_f64 v[97:98], v[57:58], s[8:9]
	v_mul_f64 v[105:106], v[81:82], s[8:9]
	s_mov_b32 s22, 0x9bcd5057
	s_mov_b32 s24, 0x8eee2c13
	;; [unrolled: 1-line block ×6, first 2 shown]
	v_fma_f64 v[0:1], v[89:90], s[6:7], -v[101:102]
	v_fma_f64 v[2:3], v[83:84], s[6:7], v[107:108]
	v_mul_f64 v[93:94], v[53:54], s[20:21]
	v_mul_f64 v[109:110], v[71:72], s[20:21]
	v_fma_f64 v[61:62], v[85:86], s[14:15], -v[99:100]
	v_fma_f64 v[73:74], v[67:68], s[14:15], v[103:104]
	v_mul_f64 v[95:96], v[55:56], s[24:25]
	v_mul_f64 v[111:112], v[69:70], s[24:25]
	v_fma_f64 v[113:114], v[77:78], s[18:19], -v[97:98]
	v_fma_f64 v[115:116], v[65:66], s[18:19], v[105:106]
	v_add_f64 v[0:1], v[0:1], v[20:21]
	v_add_f64 v[2:3], v[2:3], v[22:23]
	v_fma_f64 v[117:118], v[75:76], s[22:23], -v[93:94]
	v_fma_f64 v[119:120], v[59:60], s[22:23], v[109:110]
	v_add_f64 v[0:1], v[61:62], v[0:1]
	v_add_f64 v[2:3], v[2:3], v[73:74]
	;; [unrolled: 1-line block ×6, first 2 shown]
	v_fma_f64 v[113:114], v[73:74], s[26:27], -v[95:96]
	v_fma_f64 v[115:116], v[61:62], s[26:27], v[111:112]
	v_add_f64 v[0:1], v[117:118], v[0:1]
	v_add_f64 v[2:3], v[119:120], v[2:3]
	;; [unrolled: 1-line block ×4, first 2 shown]
	s_and_saveexec_b32 s33, s0
	s_cbranch_execz .LBB0_13
; %bb.12:
	v_mul_f64 v[113:114], v[91:92], s[20:21]
	v_mul_f64 v[115:116], v[89:90], s[22:23]
	v_add_f64 v[42:43], v[42:43], v[22:23]
	v_add_f64 v[40:41], v[40:41], v[20:21]
	v_mul_f64 v[117:118], v[83:84], s[6:7]
	s_mov_b32 s29, 0x3fe14ced
	s_mov_b32 s28, s8
	;; [unrolled: 1-line block ×6, first 2 shown]
	v_mul_f64 v[119:120], v[85:86], s[18:19]
	v_mul_f64 v[121:122], v[87:88], s[28:29]
	;; [unrolled: 1-line block ×8, first 2 shown]
	s_mov_b32 s35, 0x3fe82f19
	s_mov_b32 s34, s4
	s_mov_b32 s37, 0xbfed1bb4
	v_fma_f64 v[123:124], v[83:84], s[22:23], v[113:114]
	v_fma_f64 v[125:126], v[79:80], s[0:1], v[115:116]
	v_add_f64 v[42:43], v[46:47], v[42:43]
	v_add_f64 v[40:41], v[44:45], v[40:41]
	v_fma_f64 v[44:45], v[83:84], s[22:23], -v[113:114]
	v_mul_f64 v[46:47], v[89:90], s[6:7]
	v_fma_f64 v[113:114], v[79:80], s[20:21], v[115:116]
	v_mul_f64 v[115:116], v[65:66], s[18:19]
	v_add_f64 v[107:108], v[117:118], -v[107:108]
	v_mul_f64 v[117:118], v[81:82], s[4:5]
	s_mov_b32 s36, s24
	v_fma_f64 v[141:142], v[63:64], s[8:9], v[119:120]
	v_fma_f64 v[139:140], v[67:68], s[18:19], v[121:122]
	v_fma_f64 v[121:122], v[67:68], s[18:19], -v[121:122]
	v_fma_f64 v[119:120], v[63:64], s[28:29], v[119:120]
	v_add_f64 v[103:104], v[131:132], -v[103:104]
	v_add_f64 v[109:110], v[129:130], -v[109:110]
	v_mul_f64 v[129:130], v[87:88], s[0:1]
	v_fma_f64 v[131:132], v[79:80], s[16:17], v[135:136]
	v_add_f64 v[99:100], v[99:100], v[133:134]
	v_mul_f64 v[133:134], v[81:82], s[24:25]
	v_fma_f64 v[135:136], v[79:80], s[30:31], v[135:136]
	v_add_f64 v[123:124], v[123:124], v[22:23]
	v_add_f64 v[125:126], v[125:126], v[20:21]
	;; [unrolled: 1-line block ×5, first 2 shown]
	v_mul_f64 v[44:45], v[77:78], s[6:7]
	v_add_f64 v[113:114], v[113:114], v[20:21]
	v_add_f64 v[46:47], v[101:102], v[46:47]
	;; [unrolled: 1-line block ×3, first 2 shown]
	v_mul_f64 v[101:102], v[85:86], s[22:23]
	v_add_f64 v[105:106], v[115:116], -v[105:106]
	v_fma_f64 v[115:116], v[83:84], s[14:15], v[137:138]
	v_add_f64 v[36:37], v[127:128], -v[111:112]
	v_mul_f64 v[127:128], v[71:72], s[24:25]
	v_fma_f64 v[137:138], v[83:84], s[14:15], -v[137:138]
	v_mul_f64 v[111:112], v[73:74], s[26:27]
	v_mul_f64 v[143:144], v[77:78], s[18:19]
	v_add_f64 v[131:132], v[131:132], v[20:21]
	v_add_f64 v[135:136], v[135:136], v[20:21]
	;; [unrolled: 1-line block ×4, first 2 shown]
	v_fma_f64 v[139:140], v[65:66], s[6:7], v[117:118]
	v_fma_f64 v[117:118], v[65:66], s[6:7], -v[117:118]
	v_add_f64 v[42:43], v[42:43], v[121:122]
	v_fma_f64 v[121:122], v[57:58], s[34:35], v[44:45]
	v_add_f64 v[113:114], v[119:120], v[113:114]
	v_mul_f64 v[119:120], v[75:76], s[26:27]
	v_fma_f64 v[44:45], v[57:58], s[4:5], v[44:45]
	v_add_f64 v[103:104], v[107:108], v[103:104]
	v_mul_f64 v[107:108], v[77:78], s[26:27]
	v_add_f64 v[46:47], v[46:47], v[20:21]
	v_add_f64 v[34:35], v[34:35], v[38:39]
	;; [unrolled: 1-line block ×3, first 2 shown]
	v_fma_f64 v[38:39], v[67:68], s[22:23], v[129:130]
	v_add_f64 v[40:41], v[115:116], v[22:23]
	v_fma_f64 v[115:116], v[63:64], s[20:21], v[101:102]
	v_mul_f64 v[141:142], v[89:90], s[26:27]
	v_fma_f64 v[129:130], v[67:68], s[22:23], -v[129:130]
	v_fma_f64 v[101:102], v[63:64], s[0:1], v[101:102]
	v_mul_f64 v[89:90], v[89:90], s[18:19]
	v_add_f64 v[95:96], v[95:96], v[111:112]
	v_fma_f64 v[111:112], v[65:66], s[26:27], -v[133:134]
	v_add_f64 v[97:98], v[97:98], v[143:144]
	v_add_f64 v[123:124], v[139:140], v[123:124]
	v_mul_f64 v[139:140], v[75:76], s[22:23]
	v_add_f64 v[42:43], v[117:118], v[42:43]
	v_add_f64 v[121:122], v[121:122], v[125:126]
	v_fma_f64 v[117:118], v[59:60], s[26:27], v[127:128]
	v_mul_f64 v[125:126], v[71:72], s[8:9]
	v_add_f64 v[44:45], v[44:45], v[113:114]
	v_fma_f64 v[113:114], v[53:54], s[36:37], v[119:120]
	v_fma_f64 v[119:120], v[53:54], s[24:25], v[119:120]
	v_add_f64 v[103:104], v[105:106], v[103:104]
	v_mul_f64 v[105:106], v[75:76], s[18:19]
	v_add_f64 v[46:47], v[99:100], v[46:47]
	v_fma_f64 v[99:100], v[65:66], s[26:27], v[133:134]
	v_add_f64 v[38:39], v[40:41], v[38:39]
	v_fma_f64 v[40:41], v[57:58], s[36:37], v[107:108]
	v_add_f64 v[115:116], v[115:116], v[131:132]
	v_add_f64 v[131:132], v[137:138], v[22:23]
	v_mul_f64 v[137:138], v[91:92], s[8:9]
	v_mul_f64 v[91:92], v[91:92], s[36:37]
	v_add_f64 v[30:31], v[30:31], v[34:35]
	v_add_f64 v[28:29], v[28:29], v[32:33]
	v_fma_f64 v[107:108], v[57:58], s[24:25], v[107:108]
	v_add_f64 v[101:102], v[101:102], v[135:136]
	v_add_f64 v[93:94], v[93:94], v[139:140]
	v_fma_f64 v[127:128], v[59:60], s[26:27], -v[127:128]
	v_add_f64 v[32:33], v[117:118], v[123:124]
	v_fma_f64 v[123:124], v[79:80], s[28:29], v[89:90]
	v_add_f64 v[34:35], v[113:114], v[121:122]
	v_add_f64 v[44:45], v[119:120], v[44:45]
	v_mul_f64 v[119:120], v[85:86], s[6:7]
	v_mul_f64 v[85:86], v[85:86], s[26:27]
	v_add_f64 v[46:47], v[97:98], v[46:47]
	v_fma_f64 v[97:98], v[59:60], s[18:19], v[125:126]
	v_add_f64 v[38:39], v[99:100], v[38:39]
	v_fma_f64 v[99:100], v[53:54], s[28:29], v[105:106]
	v_add_f64 v[40:41], v[40:41], v[115:116]
	v_add_f64 v[113:114], v[131:132], v[129:130]
	v_mul_f64 v[115:116], v[87:88], s[4:5]
	v_fma_f64 v[117:118], v[83:84], s[26:27], v[91:92]
	v_add_f64 v[26:27], v[26:27], v[30:31]
	v_fma_f64 v[30:31], v[79:80], s[24:25], v[141:142]
	v_add_f64 v[24:25], v[24:25], v[28:29]
	v_fma_f64 v[28:29], v[83:84], s[26:27], -v[91:92]
	v_fma_f64 v[91:92], v[79:80], s[36:37], v[141:142]
	v_fma_f64 v[121:122], v[83:84], s[18:19], v[137:138]
	v_fma_f64 v[83:84], v[83:84], s[18:19], -v[137:138]
	v_fma_f64 v[79:80], v[79:80], s[8:9], v[89:90]
	v_mul_f64 v[87:88], v[87:88], s[36:37]
	v_add_f64 v[101:102], v[107:108], v[101:102]
	v_mul_f64 v[107:108], v[81:82], s[0:1]
	v_add_f64 v[123:124], v[123:124], v[20:21]
	v_mul_f64 v[81:82], v[81:82], s[30:31]
	v_fma_f64 v[105:106], v[53:54], s[8:9], v[105:106]
	v_add_f64 v[103:104], v[109:110], v[103:104]
	v_mul_f64 v[109:110], v[69:70], s[30:31]
	v_add_f64 v[46:47], v[93:94], v[46:47]
	v_mul_f64 v[93:94], v[73:74], s[14:15]
	v_add_f64 v[40:41], v[99:100], v[40:41]
	v_add_f64 v[111:112], v[111:112], v[113:114]
	v_fma_f64 v[99:100], v[67:68], s[6:7], v[115:116]
	v_add_f64 v[117:118], v[117:118], v[22:23]
	v_fma_f64 v[113:114], v[63:64], s[34:35], v[119:120]
	v_add_f64 v[30:31], v[30:31], v[20:21]
	v_fma_f64 v[115:116], v[67:68], s[6:7], -v[115:116]
	v_add_f64 v[28:29], v[28:29], v[22:23]
	v_add_f64 v[91:92], v[91:92], v[20:21]
	;; [unrolled: 1-line block ×5, first 2 shown]
	v_fma_f64 v[79:80], v[67:68], s[26:27], -v[87:88]
	v_fma_f64 v[83:84], v[63:64], s[4:5], v[119:120]
	v_mul_f64 v[119:120], v[77:78], s[14:15]
	v_add_f64 v[16:17], v[16:17], v[24:25]
	v_fma_f64 v[24:25], v[63:64], s[36:37], v[85:86]
	v_add_f64 v[18:19], v[18:19], v[26:27]
	v_mul_f64 v[26:27], v[77:78], s[22:23]
	v_fma_f64 v[67:68], v[67:68], s[26:27], v[87:88]
	v_fma_f64 v[63:64], v[63:64], s[24:25], v[85:86]
	v_mul_f64 v[85:86], v[71:72], s[16:17]
	v_mul_f64 v[71:72], v[71:72], s[4:5]
	v_add_f64 v[38:39], v[97:98], v[38:39]
	v_mul_f64 v[97:98], v[69:70], s[4:5]
	v_add_f64 v[99:100], v[117:118], v[99:100]
	;; [unrolled: 2-line block ×3, first 2 shown]
	v_fma_f64 v[113:114], v[65:66], s[22:23], -v[107:108]
	v_add_f64 v[28:29], v[28:29], v[115:116]
	v_mul_f64 v[115:116], v[75:76], s[14:15]
	v_mul_f64 v[75:76], v[75:76], s[6:7]
	v_fma_f64 v[107:108], v[65:66], s[22:23], v[107:108]
	v_fma_f64 v[125:126], v[59:60], s[18:19], -v[125:126]
	v_add_f64 v[22:23], v[22:23], v[79:80]
	v_fma_f64 v[79:80], v[65:66], s[14:15], -v[81:82]
	v_add_f64 v[83:84], v[83:84], v[91:92]
	v_fma_f64 v[91:92], v[57:58], s[30:31], v[119:120]
	v_add_f64 v[20:21], v[24:25], v[20:21]
	v_fma_f64 v[65:66], v[65:66], s[14:15], v[81:82]
	v_fma_f64 v[24:25], v[57:58], s[0:1], v[26:27]
	;; [unrolled: 1-line block ×3, first 2 shown]
	v_add_f64 v[67:68], v[121:122], v[67:68]
	v_fma_f64 v[57:58], v[57:58], s[16:17], v[119:120]
	v_add_f64 v[63:64], v[63:64], v[123:124]
	v_add_f64 v[14:15], v[14:15], v[18:19]
	v_add_f64 v[12:13], v[12:13], v[16:17]
	v_mul_f64 v[119:120], v[69:70], s[28:29]
	v_mul_f64 v[121:122], v[73:74], s[18:19]
	v_fma_f64 v[123:124], v[59:60], s[14:15], -v[85:86]
	v_mul_f64 v[69:70], v[69:70], s[20:21]
	v_add_f64 v[28:29], v[113:114], v[28:29]
	v_mul_f64 v[73:74], v[73:74], s[22:23]
	v_fma_f64 v[16:17], v[53:54], s[4:5], v[75:76]
	v_fma_f64 v[113:114], v[53:54], s[16:17], v[115:116]
	;; [unrolled: 1-line block ×4, first 2 shown]
	v_add_f64 v[22:23], v[79:80], v[22:23]
	v_fma_f64 v[79:80], v[59:60], s[6:7], -v[71:72]
	v_add_f64 v[42:43], v[127:128], v[42:43]
	v_add_f64 v[18:19], v[91:92], v[20:21]
	v_fma_f64 v[89:90], v[61:62], s[14:15], v[109:110]
	v_add_f64 v[20:21], v[24:25], v[83:84]
	v_fma_f64 v[24:25], v[59:60], s[14:15], v[85:86]
	v_add_f64 v[83:84], v[107:108], v[99:100]
	v_fma_f64 v[85:86], v[53:54], s[30:31], v[115:116]
	v_add_f64 v[26:27], v[26:27], v[30:31]
	v_fma_f64 v[30:31], v[59:60], s[6:7], v[71:72]
	v_add_f64 v[59:60], v[65:66], v[67:68]
	v_fma_f64 v[53:54], v[53:54], s[34:35], v[75:76]
	v_add_f64 v[57:58], v[57:58], v[63:64]
	v_add_f64 v[71:72], v[105:106], v[101:102]
	;; [unrolled: 1-line block ×4, first 2 shown]
	v_fma_f64 v[63:64], v[61:62], s[6:7], -v[97:98]
	v_fma_f64 v[75:76], v[61:62], s[18:19], -v[119:120]
	v_add_f64 v[28:29], v[123:124], v[28:29]
	v_fma_f64 v[91:92], v[61:62], s[22:23], -v[69:70]
	v_fma_f64 v[97:98], v[55:56], s[20:21], v[73:74]
	v_fma_f64 v[67:68], v[55:56], s[4:5], v[77:78]
	v_add_f64 v[79:80], v[79:80], v[22:23]
	v_fma_f64 v[77:78], v[55:56], s[28:29], v[121:122]
	v_add_f64 v[16:17], v[16:17], v[18:19]
	v_add_f64 v[65:66], v[125:126], v[111:112]
	;; [unrolled: 1-line block ×3, first 2 shown]
	v_fma_f64 v[117:118], v[55:56], s[16:17], v[93:94]
	v_fma_f64 v[109:110], v[61:62], s[14:15], -v[109:110]
	v_fma_f64 v[93:94], v[55:56], s[30:31], v[93:94]
	v_fma_f64 v[105:106], v[61:62], s[18:19], v[119:120]
	v_add_f64 v[83:84], v[24:25], v[83:84]
	v_fma_f64 v[107:108], v[55:56], s[8:9], v[121:122]
	v_add_f64 v[85:86], v[85:86], v[26:27]
	;; [unrolled: 2-line block ×4, first 2 shown]
	v_add_f64 v[6:7], v[6:7], v[99:100]
	v_add_f64 v[4:5], v[4:5], v[101:102]
	;; [unrolled: 1-line block ×19, first 2 shown]
	v_mad_u32_u24 v44, 0xb0, v52, 0
	v_add_f64 v[40:41], v[55:56], v[53:54]
	ds_write_b128 v44, v[4:7]
	ds_write_b128 v44, v[28:31] offset:16
	ds_write_b128 v44, v[24:27] offset:32
	;; [unrolled: 1-line block ×10, first 2 shown]
.LBB0_13:
	s_or_b32 exec_lo, exec_lo, s33
	v_and_b32_e32 v4, 0xff, v52
	s_load_dwordx2 s[2:3], s[2:3], 0x0
	s_waitcnt lgkmcnt(0)
	s_barrier
	buffer_gl0_inv
	v_mul_lo_u16 v4, 0x75, v4
	v_lshl_add_u32 v32, v52, 4, 0
	s_mov_b32 s0, 0x37e14327
	s_mov_b32 s1, 0x3fe948f6
	;; [unrolled: 1-line block ×3, first 2 shown]
	v_lshrrev_b16 v4, 8, v4
	s_mov_b32 s6, 0xe976ee23
	s_mov_b32 s5, 0x3fac98ee
	;; [unrolled: 1-line block ×4, first 2 shown]
	v_sub_nc_u16 v5, v52, v4
	s_mov_b32 s8, 0x5476071b
	s_mov_b32 s15, 0xbfd5d0dc
	;; [unrolled: 1-line block ×3, first 2 shown]
	v_lshrrev_b16 v5, 1, v5
	v_and_b32_e32 v5, 0x7f, v5
	v_add_nc_u16 v4, v5, v4
	v_mov_b32_e32 v5, 6
	v_lshrrev_b16 v47, 3, v4
	v_mul_lo_u16 v4, v47, 11
	v_sub_nc_u16 v71, v52, v4
	v_mul_u32_u24_sdwa v4, v71, v5 dst_sel:DWORD dst_unused:UNUSED_PAD src0_sel:BYTE_0 src1_sel:DWORD
	v_lshlrev_b32_e32 v24, 4, v4
	s_clause 0x5
	global_load_dwordx4 v[4:7], v24, s[12:13]
	global_load_dwordx4 v[8:11], v24, s[12:13] offset:16
	global_load_dwordx4 v[12:15], v24, s[12:13] offset:80
	;; [unrolled: 1-line block ×5, first 2 shown]
	ds_read_b128 v[28:31], v32 offset:1408
	ds_read_b128 v[33:36], v32 offset:2816
	;; [unrolled: 1-line block ×6, first 2 shown]
	s_waitcnt vmcnt(5) lgkmcnt(5)
	v_mul_f64 v[45:46], v[30:31], v[6:7]
	v_mul_f64 v[6:7], v[28:29], v[6:7]
	s_waitcnt vmcnt(4) lgkmcnt(4)
	v_mul_f64 v[61:62], v[35:36], v[10:11]
	v_mul_f64 v[10:11], v[33:34], v[10:11]
	;; [unrolled: 3-line block ×6, first 2 shown]
	v_fma_f64 v[28:29], v[28:29], v[4:5], v[45:46]
	v_fma_f64 v[4:5], v[30:31], v[4:5], -v[6:7]
	v_fma_f64 v[6:7], v[33:34], v[8:9], v[61:62]
	v_fma_f64 v[8:9], v[35:36], v[8:9], -v[10:11]
	;; [unrolled: 2-line block ×6, first 2 shown]
	v_add_f64 v[26:27], v[28:29], v[10:11]
	v_add_f64 v[30:31], v[4:5], v[12:13]
	;; [unrolled: 1-line block ×4, first 2 shown]
	v_add_f64 v[14:15], v[6:7], -v[14:15]
	v_add_f64 v[8:9], v[8:9], -v[16:17]
	v_add_f64 v[37:38], v[18:19], v[22:23]
	v_add_f64 v[39:40], v[20:21], v[24:25]
	v_add_f64 v[16:17], v[22:23], -v[18:19]
	v_add_f64 v[18:19], v[24:25], -v[20:21]
	;; [unrolled: 1-line block ×4, first 2 shown]
	ds_read_b128 v[4:7], v32
	s_waitcnt lgkmcnt(0)
	s_barrier
	buffer_gl0_inv
	v_add_f64 v[20:21], v[33:34], v[26:27]
	v_add_f64 v[22:23], v[35:36], v[30:31]
	v_add_f64 v[24:25], v[26:27], -v[37:38]
	v_add_f64 v[28:29], v[30:31], -v[39:40]
	;; [unrolled: 1-line block ×10, first 2 shown]
	v_add_f64 v[14:15], v[16:17], v[14:15]
	v_add_f64 v[8:9], v[18:19], v[8:9]
	v_add_f64 v[16:17], v[10:11], -v[16:17]
	v_add_f64 v[18:19], v[12:13], -v[18:19]
	v_add_f64 v[20:21], v[37:38], v[20:21]
	v_add_f64 v[22:23], v[39:40], v[22:23]
	v_mul_f64 v[24:25], v[24:25], s[0:1]
	v_mul_f64 v[28:29], v[28:29], s[0:1]
	s_mov_b32 s0, 0x429ad128
	v_mul_f64 v[33:34], v[41:42], s[4:5]
	v_mul_f64 v[35:36], v[43:44], s[4:5]
	;; [unrolled: 1-line block ×4, first 2 shown]
	s_mov_b32 s1, 0xbfebfeb5
	s_mov_b32 s6, 0xaaaaaaaa
	v_mul_f64 v[45:46], v[55:56], s[0:1]
	v_mul_f64 v[53:54], v[57:58], s[0:1]
	s_mov_b32 s7, 0xbff2aaaa
	v_add_f64 v[10:11], v[14:15], v[10:11]
	v_add_f64 v[8:9], v[8:9], v[12:13]
	;; [unrolled: 1-line block ×4, first 2 shown]
	v_fma_f64 v[12:13], v[41:42], s[4:5], v[24:25]
	v_fma_f64 v[14:15], v[43:44], s[4:5], v[28:29]
	v_fma_f64 v[33:34], v[26:27], s[8:9], -v[33:34]
	v_fma_f64 v[35:36], v[30:31], s[8:9], -v[35:36]
	s_mov_b32 s9, 0xbfe77f67
	v_fma_f64 v[41:42], v[16:17], s[14:15], v[37:38]
	v_fma_f64 v[43:44], v[18:19], s[14:15], v[39:40]
	s_mov_b32 s15, 0x3fd5d0dc
	v_fma_f64 v[37:38], v[55:56], s[0:1], -v[37:38]
	v_fma_f64 v[39:40], v[57:58], s[0:1], -v[39:40]
	;; [unrolled: 1-line block ×6, first 2 shown]
	s_mov_b32 s0, 0x37c3f68c
	s_mov_b32 s1, 0xbfdc38aa
	v_fma_f64 v[20:21], v[20:21], s[6:7], v[4:5]
	v_fma_f64 v[22:23], v[22:23], s[6:7], v[6:7]
	;; [unrolled: 1-line block ×8, first 2 shown]
	v_cmp_gt_u32_e64 s0, 0x4d, v52
	v_add_f64 v[45:46], v[12:13], v[20:21]
	v_add_f64 v[53:54], v[14:15], v[22:23]
	;; [unrolled: 1-line block ×6, first 2 shown]
	v_mov_b32_e32 v33, 0x4d0
	v_mov_b32_e32 v34, 4
	v_mul_u32_u24_sdwa v33, v47, v33 dst_sel:DWORD dst_unused:UNUSED_PAD src0_sel:WORD_0 src1_sel:DWORD
	v_lshlrev_b32_sdwa v34, v34, v71 dst_sel:DWORD dst_unused:UNUSED_PAD src0_sel:DWORD src1_sel:BYTE_0
	v_add3_u32 v33, 0, v33, v34
	v_add_f64 v[8:9], v[28:29], v[45:46]
	v_add_f64 v[10:11], v[53:54], -v[30:31]
	v_add_f64 v[12:13], v[43:44], v[24:25]
	v_add_f64 v[14:15], v[26:27], -v[41:42]
	v_add_f64 v[16:17], v[20:21], -v[39:40]
	v_add_f64 v[18:19], v[37:38], v[22:23]
	v_add_f64 v[20:21], v[39:40], v[20:21]
	v_add_f64 v[22:23], v[22:23], -v[37:38]
	v_add_f64 v[24:25], v[24:25], -v[43:44]
	v_add_f64 v[26:27], v[41:42], v[26:27]
	v_add_f64 v[28:29], v[45:46], -v[28:29]
	v_add_f64 v[30:31], v[30:31], v[53:54]
	ds_write_b128 v33, v[4:7]
	ds_write_b128 v33, v[8:11] offset:176
	ds_write_b128 v33, v[12:15] offset:352
	;; [unrolled: 1-line block ×6, first 2 shown]
	s_waitcnt lgkmcnt(0)
	s_barrier
	buffer_gl0_inv
	s_and_saveexec_b32 s1, s0
	s_cbranch_execnz .LBB0_16
; %bb.14:
	s_or_b32 exec_lo, exec_lo, s1
	s_and_b32 s0, vcc_lo, s0
	s_and_saveexec_b32 s1, s0
	s_cbranch_execnz .LBB0_17
.LBB0_15:
	s_endpgm
.LBB0_16:
	ds_read_b128 v[4:7], v32
	ds_read_b128 v[8:11], v32 offset:1232
	ds_read_b128 v[12:15], v32 offset:2464
	;; [unrolled: 1-line block ×7, first 2 shown]
	s_or_b32 exec_lo, exec_lo, s1
	s_and_b32 s0, vcc_lo, s0
	s_and_saveexec_b32 s1, s0
	s_cbranch_execz .LBB0_15
.LBB0_17:
	v_mul_u32_u24_e32 v32, 7, v52
	s_mov_b32 s0, 0x667f3bcd
	s_mov_b32 s1, 0x3fe6a09e
	;; [unrolled: 1-line block ×4, first 2 shown]
	v_lshlrev_b32_e32 v61, 4, v32
	v_mul_lo_u32 v51, s2, v51
	v_lshlrev_b64 v[48:49], 4, v[48:49]
	s_clause 0x6
	global_load_dwordx4 v[32:35], v61, s[12:13] offset:1104
	global_load_dwordx4 v[36:39], v61, s[12:13] offset:1072
	;; [unrolled: 1-line block ×7, first 2 shown]
	s_waitcnt vmcnt(6) lgkmcnt(3)
	v_mul_f64 v[65:66], v[20:21], v[34:35]
	s_waitcnt vmcnt(5)
	v_mul_f64 v[67:68], v[14:15], v[38:39]
	s_waitcnt vmcnt(4) lgkmcnt(1)
	v_mul_f64 v[69:70], v[30:31], v[42:43]
	s_waitcnt vmcnt(3)
	v_mul_f64 v[71:72], v[8:9], v[46:47]
	s_waitcnt vmcnt(2)
	;; [unrolled: 2-line block ×3, first 2 shown]
	v_mul_f64 v[75:76], v[18:19], v[59:60]
	s_waitcnt vmcnt(0) lgkmcnt(0)
	v_mul_f64 v[77:78], v[2:3], v[63:64]
	v_mul_f64 v[46:47], v[10:11], v[46:47]
	;; [unrolled: 1-line block ×8, first 2 shown]
	v_fma_f64 v[22:23], v[22:23], v[32:33], -v[65:66]
	v_fma_f64 v[12:13], v[12:13], v[36:37], v[67:68]
	v_fma_f64 v[28:29], v[28:29], v[40:41], v[69:70]
	v_fma_f64 v[10:11], v[10:11], v[44:45], -v[71:72]
	v_fma_f64 v[26:27], v[26:27], v[53:54], -v[73:74]
	v_fma_f64 v[16:17], v[16:17], v[57:58], v[75:76]
	v_fma_f64 v[0:1], v[0:1], v[61:62], v[77:78]
	;; [unrolled: 1-line block ×4, first 2 shown]
	v_fma_f64 v[18:19], v[18:19], v[57:58], -v[59:60]
	v_fma_f64 v[2:3], v[2:3], v[61:62], -v[63:64]
	;; [unrolled: 1-line block ×4, first 2 shown]
	v_fma_f64 v[20:21], v[20:21], v[32:33], v[34:35]
	v_mul_lo_u32 v53, s3, v50
	v_add_f64 v[22:23], v[6:7], -v[22:23]
	v_add_f64 v[28:29], v[12:13], -v[28:29]
	;; [unrolled: 1-line block ×8, first 2 shown]
	v_fma_f64 v[6:7], v[6:7], 2.0, -v[22:23]
	v_add_f64 v[32:33], v[22:23], -v[28:29]
	v_fma_f64 v[12:13], v[12:13], 2.0, -v[28:29]
	v_fma_f64 v[10:11], v[10:11], 2.0, -v[26:27]
	v_add_f64 v[34:35], v[26:27], -v[0:1]
	v_fma_f64 v[0:1], v[16:17], 2.0, -v[0:1]
	v_fma_f64 v[8:9], v[8:9], 2.0, -v[24:25]
	v_add_f64 v[36:37], v[24:25], v[2:3]
	v_fma_f64 v[2:3], v[18:19], 2.0, -v[2:3]
	v_fma_f64 v[14:15], v[14:15], 2.0, -v[30:31]
	v_add_f64 v[38:39], v[20:21], v[30:31]
	v_fma_f64 v[4:5], v[4:5], 2.0, -v[20:21]
	v_fma_f64 v[28:29], v[22:23], 2.0, -v[32:33]
	;; [unrolled: 1-line block ×5, first 2 shown]
	v_add_f64 v[20:21], v[6:7], -v[14:15]
	v_add_f64 v[14:15], v[10:11], -v[2:3]
	;; [unrolled: 1-line block ×4, first 2 shown]
	v_fma_f64 v[0:1], v[34:35], s[0:1], v[32:33]
	v_fma_f64 v[22:23], v[36:37], s[0:1], v[38:39]
	v_mad_u64_u32 v[2:3], null, s2, v50, 0
	v_add3_u32 v3, v3, v51, v53
	v_fma_f64 v[30:31], v[16:17], s[4:5], v[28:29]
	v_mov_b32_e32 v53, 0
	v_lshlrev_b64 v[50:51], 4, v[2:3]
	v_fma_f64 v[40:41], v[18:19], s[4:5], v[24:25]
	v_fma_f64 v[42:43], v[6:7], 2.0, -v[20:21]
	v_fma_f64 v[44:45], v[10:11], 2.0, -v[14:15]
	;; [unrolled: 1-line block ×4, first 2 shown]
	v_add_f64 v[6:7], v[20:21], -v[12:13]
	v_add_f64 v[4:5], v[26:27], v[14:15]
	v_fma_f64 v[2:3], v[36:37], s[4:5], v[0:1]
	v_fma_f64 v[0:1], v[34:35], s[0:1], v[22:23]
	;; [unrolled: 1-line block ×3, first 2 shown]
	v_add_co_u32 v18, vcc_lo, s10, v50
	v_add_co_ci_u32_e32 v19, vcc_lo, s11, v51, vcc_lo
	v_fma_f64 v[8:9], v[16:17], s[0:1], v[40:41]
	v_lshlrev_b64 v[16:17], 4, v[52:53]
	v_add_f64 v[14:15], v[42:43], -v[44:45]
	v_add_co_u32 v18, vcc_lo, v18, v48
	v_add_f64 v[12:13], v[46:47], -v[54:55]
	v_add_co_ci_u32_e32 v19, vcc_lo, v19, v49, vcc_lo
	v_add_co_u32 v34, vcc_lo, v18, v16
	v_fma_f64 v[22:23], v[20:21], 2.0, -v[6:7]
	v_fma_f64 v[20:21], v[26:27], 2.0, -v[4:5]
	v_add_co_ci_u32_e32 v35, vcc_lo, v19, v17, vcc_lo
	v_fma_f64 v[18:19], v[32:33], 2.0, -v[2:3]
	v_fma_f64 v[16:17], v[38:39], 2.0, -v[0:1]
	v_fma_f64 v[26:27], v[28:29], 2.0, -v[10:11]
	v_add_co_u32 v32, vcc_lo, 0x800, v34
	v_add_co_ci_u32_e32 v33, vcc_lo, 0, v35, vcc_lo
	v_add_co_u32 v36, vcc_lo, 0x1000, v34
	v_fma_f64 v[24:25], v[24:25], 2.0, -v[8:9]
	v_fma_f64 v[30:31], v[42:43], 2.0, -v[14:15]
	v_add_co_ci_u32_e32 v37, vcc_lo, 0, v35, vcc_lo
	v_fma_f64 v[28:29], v[46:47], 2.0, -v[12:13]
	v_add_co_u32 v38, vcc_lo, 0x1800, v34
	v_add_co_ci_u32_e32 v39, vcc_lo, 0, v35, vcc_lo
	v_add_co_u32 v40, vcc_lo, 0x2000, v34
	v_add_co_ci_u32_e32 v41, vcc_lo, 0, v35, vcc_lo
	global_store_dwordx4 v[38:39], v[4:7], off offset:1248
	global_store_dwordx4 v[32:33], v[20:23], off offset:416
	;; [unrolled: 1-line block ×5, first 2 shown]
	global_store_dwordx4 v[34:35], v[28:31], off
	global_store_dwordx4 v[34:35], v[24:27], off offset:1232
	global_store_dwordx4 v[40:41], v[0:3], off offset:432
	s_endpgm
	.section	.rodata,"a",@progbits
	.p2align	6, 0x0
	.amdhsa_kernel fft_rtc_back_len616_factors_11_7_8_wgs_88_tpt_88_dp_op_CI_CI_unitstride_sbrr_dirReg
		.amdhsa_group_segment_fixed_size 0
		.amdhsa_private_segment_fixed_size 0
		.amdhsa_kernarg_size 104
		.amdhsa_user_sgpr_count 6
		.amdhsa_user_sgpr_private_segment_buffer 1
		.amdhsa_user_sgpr_dispatch_ptr 0
		.amdhsa_user_sgpr_queue_ptr 0
		.amdhsa_user_sgpr_kernarg_segment_ptr 1
		.amdhsa_user_sgpr_dispatch_id 0
		.amdhsa_user_sgpr_flat_scratch_init 0
		.amdhsa_user_sgpr_private_segment_size 0
		.amdhsa_wavefront_size32 1
		.amdhsa_uses_dynamic_stack 0
		.amdhsa_system_sgpr_private_segment_wavefront_offset 0
		.amdhsa_system_sgpr_workgroup_id_x 1
		.amdhsa_system_sgpr_workgroup_id_y 0
		.amdhsa_system_sgpr_workgroup_id_z 0
		.amdhsa_system_sgpr_workgroup_info 0
		.amdhsa_system_vgpr_workitem_id 0
		.amdhsa_next_free_vgpr 145
		.amdhsa_next_free_sgpr 38
		.amdhsa_reserve_vcc 1
		.amdhsa_reserve_flat_scratch 0
		.amdhsa_float_round_mode_32 0
		.amdhsa_float_round_mode_16_64 0
		.amdhsa_float_denorm_mode_32 3
		.amdhsa_float_denorm_mode_16_64 3
		.amdhsa_dx10_clamp 1
		.amdhsa_ieee_mode 1
		.amdhsa_fp16_overflow 0
		.amdhsa_workgroup_processor_mode 1
		.amdhsa_memory_ordered 1
		.amdhsa_forward_progress 0
		.amdhsa_shared_vgpr_count 0
		.amdhsa_exception_fp_ieee_invalid_op 0
		.amdhsa_exception_fp_denorm_src 0
		.amdhsa_exception_fp_ieee_div_zero 0
		.amdhsa_exception_fp_ieee_overflow 0
		.amdhsa_exception_fp_ieee_underflow 0
		.amdhsa_exception_fp_ieee_inexact 0
		.amdhsa_exception_int_div_zero 0
	.end_amdhsa_kernel
	.text
.Lfunc_end0:
	.size	fft_rtc_back_len616_factors_11_7_8_wgs_88_tpt_88_dp_op_CI_CI_unitstride_sbrr_dirReg, .Lfunc_end0-fft_rtc_back_len616_factors_11_7_8_wgs_88_tpt_88_dp_op_CI_CI_unitstride_sbrr_dirReg
                                        ; -- End function
	.section	.AMDGPU.csdata,"",@progbits
; Kernel info:
; codeLenInByte = 6740
; NumSgprs: 40
; NumVgprs: 145
; ScratchSize: 0
; MemoryBound: 1
; FloatMode: 240
; IeeeMode: 1
; LDSByteSize: 0 bytes/workgroup (compile time only)
; SGPRBlocks: 4
; VGPRBlocks: 18
; NumSGPRsForWavesPerEU: 40
; NumVGPRsForWavesPerEU: 145
; Occupancy: 6
; WaveLimiterHint : 1
; COMPUTE_PGM_RSRC2:SCRATCH_EN: 0
; COMPUTE_PGM_RSRC2:USER_SGPR: 6
; COMPUTE_PGM_RSRC2:TRAP_HANDLER: 0
; COMPUTE_PGM_RSRC2:TGID_X_EN: 1
; COMPUTE_PGM_RSRC2:TGID_Y_EN: 0
; COMPUTE_PGM_RSRC2:TGID_Z_EN: 0
; COMPUTE_PGM_RSRC2:TIDIG_COMP_CNT: 0
	.text
	.p2alignl 6, 3214868480
	.fill 48, 4, 3214868480
	.type	__hip_cuid_c1603803700588e1,@object ; @__hip_cuid_c1603803700588e1
	.section	.bss,"aw",@nobits
	.globl	__hip_cuid_c1603803700588e1
__hip_cuid_c1603803700588e1:
	.byte	0                               ; 0x0
	.size	__hip_cuid_c1603803700588e1, 1

	.ident	"AMD clang version 19.0.0git (https://github.com/RadeonOpenCompute/llvm-project roc-6.4.0 25133 c7fe45cf4b819c5991fe208aaa96edf142730f1d)"
	.section	".note.GNU-stack","",@progbits
	.addrsig
	.addrsig_sym __hip_cuid_c1603803700588e1
	.amdgpu_metadata
---
amdhsa.kernels:
  - .args:
      - .actual_access:  read_only
        .address_space:  global
        .offset:         0
        .size:           8
        .value_kind:     global_buffer
      - .offset:         8
        .size:           8
        .value_kind:     by_value
      - .actual_access:  read_only
        .address_space:  global
        .offset:         16
        .size:           8
        .value_kind:     global_buffer
      - .actual_access:  read_only
        .address_space:  global
        .offset:         24
        .size:           8
        .value_kind:     global_buffer
      - .actual_access:  read_only
        .address_space:  global
        .offset:         32
        .size:           8
        .value_kind:     global_buffer
      - .offset:         40
        .size:           8
        .value_kind:     by_value
      - .actual_access:  read_only
        .address_space:  global
        .offset:         48
        .size:           8
        .value_kind:     global_buffer
      - .actual_access:  read_only
        .address_space:  global
        .offset:         56
        .size:           8
        .value_kind:     global_buffer
      - .offset:         64
        .size:           4
        .value_kind:     by_value
      - .actual_access:  read_only
        .address_space:  global
        .offset:         72
        .size:           8
        .value_kind:     global_buffer
      - .actual_access:  read_only
        .address_space:  global
        .offset:         80
        .size:           8
        .value_kind:     global_buffer
      - .actual_access:  read_only
        .address_space:  global
        .offset:         88
        .size:           8
        .value_kind:     global_buffer
      - .actual_access:  write_only
        .address_space:  global
        .offset:         96
        .size:           8
        .value_kind:     global_buffer
    .group_segment_fixed_size: 0
    .kernarg_segment_align: 8
    .kernarg_segment_size: 104
    .language:       OpenCL C
    .language_version:
      - 2
      - 0
    .max_flat_workgroup_size: 88
    .name:           fft_rtc_back_len616_factors_11_7_8_wgs_88_tpt_88_dp_op_CI_CI_unitstride_sbrr_dirReg
    .private_segment_fixed_size: 0
    .sgpr_count:     40
    .sgpr_spill_count: 0
    .symbol:         fft_rtc_back_len616_factors_11_7_8_wgs_88_tpt_88_dp_op_CI_CI_unitstride_sbrr_dirReg.kd
    .uniform_work_group_size: 1
    .uses_dynamic_stack: false
    .vgpr_count:     145
    .vgpr_spill_count: 0
    .wavefront_size: 32
    .workgroup_processor_mode: 1
amdhsa.target:   amdgcn-amd-amdhsa--gfx1030
amdhsa.version:
  - 1
  - 2
...

	.end_amdgpu_metadata
